;; amdgpu-corpus repo=ROCm/rocFFT kind=compiled arch=gfx906 opt=O3
	.text
	.amdgcn_target "amdgcn-amd-amdhsa--gfx906"
	.amdhsa_code_object_version 6
	.protected	fft_rtc_back_len208_factors_13_16_wgs_64_tpt_16_halfLds_dp_ip_CI_unitstride_sbrr_R2C_dirReg ; -- Begin function fft_rtc_back_len208_factors_13_16_wgs_64_tpt_16_halfLds_dp_ip_CI_unitstride_sbrr_R2C_dirReg
	.globl	fft_rtc_back_len208_factors_13_16_wgs_64_tpt_16_halfLds_dp_ip_CI_unitstride_sbrr_R2C_dirReg
	.p2align	8
	.type	fft_rtc_back_len208_factors_13_16_wgs_64_tpt_16_halfLds_dp_ip_CI_unitstride_sbrr_R2C_dirReg,@function
fft_rtc_back_len208_factors_13_16_wgs_64_tpt_16_halfLds_dp_ip_CI_unitstride_sbrr_R2C_dirReg: ; @fft_rtc_back_len208_factors_13_16_wgs_64_tpt_16_halfLds_dp_ip_CI_unitstride_sbrr_R2C_dirReg
; %bb.0:
	s_load_dwordx2 s[2:3], s[4:5], 0x50
	s_load_dwordx4 s[8:11], s[4:5], 0x0
	s_load_dwordx2 s[12:13], s[4:5], 0x18
	v_lshrrev_b32_e32 v9, 4, v0
	v_mov_b32_e32 v3, 0
	v_mov_b32_e32 v1, 0
	s_waitcnt lgkmcnt(0)
	v_cmp_lt_u64_e64 s[0:1], s[10:11], 2
	v_lshl_or_b32 v5, s6, 2, v9
	v_mov_b32_e32 v6, v3
	s_and_b64 vcc, exec, s[0:1]
	v_mov_b32_e32 v2, 0
	s_cbranch_vccnz .LBB0_8
; %bb.1:
	s_load_dwordx2 s[0:1], s[4:5], 0x10
	s_add_u32 s6, s12, 8
	s_addc_u32 s7, s13, 0
	v_mov_b32_e32 v1, 0
	v_mov_b32_e32 v2, 0
	s_waitcnt lgkmcnt(0)
	s_add_u32 s14, s0, 8
	s_addc_u32 s15, s1, 0
	s_mov_b64 s[16:17], 1
.LBB0_2:                                ; =>This Inner Loop Header: Depth=1
	s_load_dwordx2 s[18:19], s[14:15], 0x0
                                        ; implicit-def: $vgpr7_vgpr8
	s_waitcnt lgkmcnt(0)
	v_or_b32_e32 v4, s19, v6
	v_cmp_ne_u64_e32 vcc, 0, v[3:4]
	s_and_saveexec_b64 s[0:1], vcc
	s_xor_b64 s[20:21], exec, s[0:1]
	s_cbranch_execz .LBB0_4
; %bb.3:                                ;   in Loop: Header=BB0_2 Depth=1
	v_cvt_f32_u32_e32 v4, s18
	v_cvt_f32_u32_e32 v7, s19
	s_sub_u32 s0, 0, s18
	s_subb_u32 s1, 0, s19
	v_mac_f32_e32 v4, 0x4f800000, v7
	v_rcp_f32_e32 v4, v4
	v_mul_f32_e32 v4, 0x5f7ffffc, v4
	v_mul_f32_e32 v7, 0x2f800000, v4
	v_trunc_f32_e32 v7, v7
	v_mac_f32_e32 v4, 0xcf800000, v7
	v_cvt_u32_f32_e32 v7, v7
	v_cvt_u32_f32_e32 v4, v4
	v_mul_lo_u32 v8, s0, v7
	v_mul_hi_u32 v10, s0, v4
	v_mul_lo_u32 v12, s1, v4
	v_mul_lo_u32 v11, s0, v4
	v_add_u32_e32 v8, v10, v8
	v_add_u32_e32 v8, v8, v12
	v_mul_hi_u32 v10, v4, v11
	v_mul_lo_u32 v12, v4, v8
	v_mul_hi_u32 v14, v4, v8
	v_mul_hi_u32 v13, v7, v11
	v_mul_lo_u32 v11, v7, v11
	v_mul_hi_u32 v15, v7, v8
	v_add_co_u32_e32 v10, vcc, v10, v12
	v_addc_co_u32_e32 v12, vcc, 0, v14, vcc
	v_mul_lo_u32 v8, v7, v8
	v_add_co_u32_e32 v10, vcc, v10, v11
	v_addc_co_u32_e32 v10, vcc, v12, v13, vcc
	v_addc_co_u32_e32 v11, vcc, 0, v15, vcc
	v_add_co_u32_e32 v8, vcc, v10, v8
	v_addc_co_u32_e32 v10, vcc, 0, v11, vcc
	v_add_co_u32_e32 v4, vcc, v4, v8
	v_addc_co_u32_e32 v7, vcc, v7, v10, vcc
	v_mul_lo_u32 v8, s0, v7
	v_mul_hi_u32 v10, s0, v4
	v_mul_lo_u32 v11, s1, v4
	v_mul_lo_u32 v12, s0, v4
	v_add_u32_e32 v8, v10, v8
	v_add_u32_e32 v8, v8, v11
	v_mul_lo_u32 v13, v4, v8
	v_mul_hi_u32 v14, v4, v12
	v_mul_hi_u32 v15, v4, v8
	;; [unrolled: 1-line block ×3, first 2 shown]
	v_mul_lo_u32 v12, v7, v12
	v_mul_hi_u32 v10, v7, v8
	v_add_co_u32_e32 v13, vcc, v14, v13
	v_addc_co_u32_e32 v14, vcc, 0, v15, vcc
	v_mul_lo_u32 v8, v7, v8
	v_add_co_u32_e32 v12, vcc, v13, v12
	v_addc_co_u32_e32 v11, vcc, v14, v11, vcc
	v_addc_co_u32_e32 v10, vcc, 0, v10, vcc
	v_add_co_u32_e32 v8, vcc, v11, v8
	v_addc_co_u32_e32 v10, vcc, 0, v10, vcc
	v_add_co_u32_e32 v4, vcc, v4, v8
	v_addc_co_u32_e32 v10, vcc, v7, v10, vcc
	v_mad_u64_u32 v[7:8], s[0:1], v5, v10, 0
	v_mul_hi_u32 v11, v5, v4
	v_add_co_u32_e32 v12, vcc, v11, v7
	v_addc_co_u32_e32 v13, vcc, 0, v8, vcc
	v_mad_u64_u32 v[7:8], s[0:1], v6, v4, 0
	v_mad_u64_u32 v[10:11], s[0:1], v6, v10, 0
	v_add_co_u32_e32 v4, vcc, v12, v7
	v_addc_co_u32_e32 v4, vcc, v13, v8, vcc
	v_addc_co_u32_e32 v7, vcc, 0, v11, vcc
	v_add_co_u32_e32 v4, vcc, v4, v10
	v_addc_co_u32_e32 v10, vcc, 0, v7, vcc
	v_mul_lo_u32 v11, s19, v4
	v_mul_lo_u32 v12, s18, v10
	v_mad_u64_u32 v[7:8], s[0:1], s18, v4, 0
	v_add3_u32 v8, v8, v12, v11
	v_sub_u32_e32 v11, v6, v8
	v_mov_b32_e32 v12, s19
	v_sub_co_u32_e32 v7, vcc, v5, v7
	v_subb_co_u32_e64 v11, s[0:1], v11, v12, vcc
	v_subrev_co_u32_e64 v12, s[0:1], s18, v7
	v_subbrev_co_u32_e64 v11, s[0:1], 0, v11, s[0:1]
	v_cmp_le_u32_e64 s[0:1], s19, v11
	v_cndmask_b32_e64 v13, 0, -1, s[0:1]
	v_cmp_le_u32_e64 s[0:1], s18, v12
	v_cndmask_b32_e64 v12, 0, -1, s[0:1]
	v_cmp_eq_u32_e64 s[0:1], s19, v11
	v_cndmask_b32_e64 v11, v13, v12, s[0:1]
	v_add_co_u32_e64 v12, s[0:1], 2, v4
	v_addc_co_u32_e64 v13, s[0:1], 0, v10, s[0:1]
	v_add_co_u32_e64 v14, s[0:1], 1, v4
	v_addc_co_u32_e64 v15, s[0:1], 0, v10, s[0:1]
	v_subb_co_u32_e32 v8, vcc, v6, v8, vcc
	v_cmp_ne_u32_e64 s[0:1], 0, v11
	v_cmp_le_u32_e32 vcc, s19, v8
	v_cndmask_b32_e64 v11, v15, v13, s[0:1]
	v_cndmask_b32_e64 v13, 0, -1, vcc
	v_cmp_le_u32_e32 vcc, s18, v7
	v_cndmask_b32_e64 v7, 0, -1, vcc
	v_cmp_eq_u32_e32 vcc, s19, v8
	v_cndmask_b32_e32 v7, v13, v7, vcc
	v_cmp_ne_u32_e32 vcc, 0, v7
	v_cndmask_b32_e64 v7, v14, v12, s[0:1]
	v_cndmask_b32_e32 v8, v10, v11, vcc
	v_cndmask_b32_e32 v7, v4, v7, vcc
.LBB0_4:                                ;   in Loop: Header=BB0_2 Depth=1
	s_andn2_saveexec_b64 s[0:1], s[20:21]
	s_cbranch_execz .LBB0_6
; %bb.5:                                ;   in Loop: Header=BB0_2 Depth=1
	v_cvt_f32_u32_e32 v4, s18
	s_sub_i32 s20, 0, s18
	v_rcp_iflag_f32_e32 v4, v4
	v_mul_f32_e32 v4, 0x4f7ffffe, v4
	v_cvt_u32_f32_e32 v4, v4
	v_mul_lo_u32 v7, s20, v4
	v_mul_hi_u32 v7, v4, v7
	v_add_u32_e32 v4, v4, v7
	v_mul_hi_u32 v4, v5, v4
	v_mul_lo_u32 v7, v4, s18
	v_add_u32_e32 v8, 1, v4
	v_sub_u32_e32 v7, v5, v7
	v_subrev_u32_e32 v10, s18, v7
	v_cmp_le_u32_e32 vcc, s18, v7
	v_cndmask_b32_e32 v7, v7, v10, vcc
	v_cndmask_b32_e32 v4, v4, v8, vcc
	v_add_u32_e32 v8, 1, v4
	v_cmp_le_u32_e32 vcc, s18, v7
	v_cndmask_b32_e32 v7, v4, v8, vcc
	v_mov_b32_e32 v8, v3
.LBB0_6:                                ;   in Loop: Header=BB0_2 Depth=1
	s_or_b64 exec, exec, s[0:1]
	v_mul_lo_u32 v4, v8, s18
	v_mul_lo_u32 v12, v7, s19
	v_mad_u64_u32 v[10:11], s[0:1], v7, s18, 0
	s_load_dwordx2 s[0:1], s[6:7], 0x0
	s_add_u32 s16, s16, 1
	v_add3_u32 v4, v11, v12, v4
	v_sub_co_u32_e32 v5, vcc, v5, v10
	v_subb_co_u32_e32 v4, vcc, v6, v4, vcc
	s_waitcnt lgkmcnt(0)
	v_mul_lo_u32 v4, s0, v4
	v_mul_lo_u32 v6, s1, v5
	v_mad_u64_u32 v[1:2], s[0:1], s0, v5, v[1:2]
	s_addc_u32 s17, s17, 0
	s_add_u32 s6, s6, 8
	v_add3_u32 v2, v6, v2, v4
	v_mov_b32_e32 v4, s10
	v_mov_b32_e32 v5, s11
	s_addc_u32 s7, s7, 0
	v_cmp_ge_u64_e32 vcc, s[16:17], v[4:5]
	s_add_u32 s14, s14, 8
	s_addc_u32 s15, s15, 0
	s_cbranch_vccnz .LBB0_9
; %bb.7:                                ;   in Loop: Header=BB0_2 Depth=1
	v_mov_b32_e32 v5, v7
	v_mov_b32_e32 v6, v8
	s_branch .LBB0_2
.LBB0_8:
	v_mov_b32_e32 v8, v6
	v_mov_b32_e32 v7, v5
.LBB0_9:
	s_lshl_b64 s[0:1], s[10:11], 3
	s_add_u32 s0, s12, s0
	s_addc_u32 s1, s13, s1
	s_load_dwordx2 s[6:7], s[0:1], 0x0
	s_load_dwordx2 s[10:11], s[4:5], 0x20
	v_mul_u32_u24_e32 v5, 0xd1, v9
	v_and_b32_e32 v64, 15, v0
	v_lshlrev_b32_e32 v65, 4, v64
	s_waitcnt lgkmcnt(0)
	v_mul_lo_u32 v3, s6, v8
	v_mul_lo_u32 v4, s7, v7
	v_mad_u64_u32 v[1:2], s[0:1], s6, v7, v[1:2]
	v_cmp_gt_u64_e32 vcc, s[10:11], v[7:8]
	v_lshlrev_b32_e32 v0, 4, v5
	v_add3_u32 v2, v4, v2, v3
	v_lshlrev_b64 v[66:67], 4, v[1:2]
	s_and_saveexec_b64 s[4:5], vcc
	s_cbranch_execz .LBB0_11
; %bb.10:
	v_mov_b32_e32 v1, s3
	v_add_co_u32_e64 v2, s[0:1], s2, v66
	v_addc_co_u32_e64 v1, s[0:1], v1, v67, s[0:1]
	v_add_co_u32_e64 v53, s[0:1], v2, v65
	v_addc_co_u32_e64 v54, s[0:1], 0, v1, s[0:1]
	global_load_dwordx4 v[1:4], v[53:54], off
	global_load_dwordx4 v[5:8], v[53:54], off offset:256
	global_load_dwordx4 v[9:12], v[53:54], off offset:512
	;; [unrolled: 1-line block ×12, first 2 shown]
	v_add3_u32 v53, 0, v0, v65
	s_waitcnt vmcnt(12)
	ds_write_b128 v53, v[1:4]
	s_waitcnt vmcnt(11)
	ds_write_b128 v53, v[5:8] offset:256
	s_waitcnt vmcnt(10)
	ds_write_b128 v53, v[9:12] offset:512
	;; [unrolled: 2-line block ×12, first 2 shown]
.LBB0_11:
	s_or_b64 exec, exec, s[4:5]
	v_add_u32_e32 v81, 0, v0
	v_add3_u32 v82, 0, v65, v0
	s_waitcnt lgkmcnt(0)
	; wave barrier
	s_waitcnt lgkmcnt(0)
	v_add_u32_e32 v80, v81, v65
	ds_read_b128 v[0:3], v82 offset:256
	ds_read_b128 v[4:7], v80
	ds_read_b128 v[8:11], v82 offset:512
	ds_read_b128 v[12:15], v82 offset:768
	s_mov_b32 s18, 0x4267c47c
	s_mov_b32 s19, 0xbfddbe06
	s_waitcnt lgkmcnt(2)
	v_add_f64 v[16:17], v[4:5], v[0:1]
	v_add_f64 v[18:19], v[6:7], v[2:3]
	s_mov_b32 s16, 0xe00740e9
	s_mov_b32 s14, 0x42a4c3d2
	;; [unrolled: 1-line block ×6, first 2 shown]
	s_waitcnt lgkmcnt(1)
	v_add_f64 v[16:17], v[16:17], v[8:9]
	v_add_f64 v[18:19], v[18:19], v[10:11]
	s_mov_b32 s17, 0x3fec55a7
	s_mov_b32 s15, 0xbfea55e2
	ds_read_b128 v[20:23], v82 offset:1280
	s_mov_b32 s1, 0xbfefc445
	s_mov_b32 s7, 0xbfedeba7
	s_mov_b32 s21, 0xbfe5384d
	s_waitcnt lgkmcnt(1)
	v_add_f64 v[24:25], v[16:17], v[12:13]
	v_add_f64 v[26:27], v[18:19], v[14:15]
	ds_read_b128 v[16:19], v82 offset:1024
	s_mov_b32 s35, 0xbfcea1e5
	s_mov_b32 s12, 0x1ea71119
	;; [unrolled: 1-line block ×5, first 2 shown]
	s_waitcnt lgkmcnt(0)
	v_add_f64 v[24:25], v[24:25], v[16:17]
	v_add_f64 v[26:27], v[26:27], v[18:19]
	s_mov_b32 s38, 0x93053d00
	s_mov_b32 s13, 0x3fe22d96
	;; [unrolled: 1-line block ×6, first 2 shown]
	v_add_f64 v[36:37], v[24:25], v[20:21]
	v_add_f64 v[38:39], v[26:27], v[22:23]
	ds_read_b128 v[24:27], v82 offset:1536
	ds_read_b128 v[28:31], v82 offset:1792
	;; [unrolled: 1-line block ×7, first 2 shown]
	s_mov_b32 s25, 0x3fddbe06
	s_mov_b32 s24, s18
	s_waitcnt lgkmcnt(5)
	v_add_f64 v[40:41], v[26:27], v[30:31]
	v_add_f64 v[44:45], v[36:37], v[24:25]
	;; [unrolled: 1-line block ×4, first 2 shown]
	v_add_f64 v[36:37], v[24:25], -v[28:29]
	v_add_f64 v[42:43], v[26:27], -v[30:31]
	s_waitcnt lgkmcnt(4)
	v_add_f64 v[48:49], v[22:23], v[34:35]
	v_add_f64 v[54:55], v[22:23], -v[34:35]
	s_waitcnt lgkmcnt(2)
	v_add_f64 v[60:61], v[12:13], v[83:84]
	v_add_f64 v[24:25], v[44:45], v[28:29]
	v_add_f64 v[26:27], v[46:47], v[30:31]
	v_add_f64 v[46:47], v[20:21], v[32:33]
	v_add_f64 v[44:45], v[20:21], -v[32:33]
	v_add_f64 v[72:73], v[14:15], v[85:86]
	v_add_f64 v[56:57], v[12:13], -v[83:84]
	v_add_f64 v[74:75], v[14:15], -v[85:86]
	v_add_f64 v[52:53], v[16:17], v[68:69]
	v_add_f64 v[20:21], v[24:25], v[32:33]
	;; [unrolled: 1-line block ×3, first 2 shown]
	v_add_f64 v[50:51], v[16:17], -v[68:69]
	s_waitcnt lgkmcnt(0)
	v_add_f64 v[16:17], v[2:3], -v[93:94]
	v_add_f64 v[76:77], v[10:11], v[89:90]
	v_add_f64 v[78:79], v[10:11], -v[89:90]
	v_add_f64 v[58:59], v[18:19], v[70:71]
	;; [unrolled: 2-line block ×3, first 2 shown]
	v_add_f64 v[14:15], v[22:23], v[70:71]
	v_add_f64 v[70:71], v[8:9], v[87:88]
	v_add_f64 v[68:69], v[8:9], -v[87:88]
	v_add_f64 v[8:9], v[0:1], v[91:92]
	v_add_f64 v[18:19], v[0:1], -v[91:92]
	v_mul_f64 v[0:1], v[16:17], s[14:15]
	v_mul_f64 v[20:21], v[16:17], s[0:1]
	v_add_f64 v[10:11], v[12:13], v[83:84]
	v_add_f64 v[12:13], v[14:15], v[85:86]
	;; [unrolled: 1-line block ×3, first 2 shown]
	v_mul_f64 v[2:3], v[16:17], s[18:19]
	v_mul_f64 v[22:23], v[16:17], s[6:7]
	;; [unrolled: 1-line block ×3, first 2 shown]
	v_fma_f64 v[30:31], v[8:9], s[12:13], v[0:1]
	v_fma_f64 v[32:33], v[8:9], s[12:13], -v[0:1]
	v_add_f64 v[10:11], v[10:11], v[87:88]
	v_add_f64 v[12:13], v[12:13], v[89:90]
	v_fma_f64 v[34:35], v[8:9], s[4:5], v[20:21]
	v_fma_f64 v[26:27], v[8:9], s[16:17], v[2:3]
	v_fma_f64 v[28:29], v[8:9], s[16:17], -v[2:3]
	v_mul_f64 v[83:84], v[14:15], s[16:17]
	s_mov_b32 s29, 0x3fea55e2
	s_mov_b32 s28, s14
	v_add_f64 v[0:1], v[10:11], v[91:92]
	v_add_f64 v[2:3], v[12:13], v[93:94]
	v_mul_f64 v[12:13], v[16:17], s[34:35]
	v_fma_f64 v[10:11], v[8:9], s[4:5], -v[20:21]
	v_fma_f64 v[16:17], v[8:9], s[10:11], v[22:23]
	v_fma_f64 v[20:21], v[8:9], s[10:11], -v[22:23]
	v_fma_f64 v[22:23], v[8:9], s[26:27], v[24:25]
	;; [unrolled: 2-line block ×3, first 2 shown]
	v_mul_f64 v[89:90], v[14:15], s[4:5]
	v_fma_f64 v[85:86], v[8:9], s[38:39], v[12:13]
	v_fma_f64 v[8:9], v[8:9], s[38:39], -v[12:13]
	v_mul_f64 v[12:13], v[14:15], s[12:13]
	v_mul_f64 v[93:94], v[14:15], s[10:11]
	;; [unrolled: 1-line block ×4, first 2 shown]
	s_mov_b32 s23, 0x3fefc445
	s_mov_b32 s22, s0
	;; [unrolled: 1-line block ×4, first 2 shown]
	v_fma_f64 v[91:92], v[18:19], s[28:29], v[12:13]
	s_mov_b32 s37, 0x3fe5384d
	s_mov_b32 s36, s20
	;; [unrolled: 1-line block ×4, first 2 shown]
	v_fma_f64 v[83:84], v[18:19], s[18:19], v[83:84]
	v_fma_f64 v[12:13], v[18:19], s[14:15], v[12:13]
	;; [unrolled: 1-line block ×10, first 2 shown]
	v_add_f64 v[18:19], v[4:5], v[26:27]
	v_add_f64 v[26:27], v[6:7], v[87:88]
	;; [unrolled: 1-line block ×3, first 2 shown]
	v_mul_f64 v[91:92], v[78:79], s[14:15]
	v_mul_f64 v[105:106], v[76:77], s[12:13]
	v_add_f64 v[107:108], v[4:5], v[10:11]
	v_add_f64 v[109:110], v[4:5], v[16:17]
	v_mul_f64 v[111:112], v[74:75], s[0:1]
	v_mul_f64 v[113:114], v[72:73], s[4:5]
	v_add_f64 v[115:116], v[4:5], v[20:21]
	v_add_f64 v[117:118], v[4:5], v[22:23]
	v_fma_f64 v[10:11], v[70:71], s[12:13], v[91:92]
	v_fma_f64 v[16:17], v[68:69], s[28:29], v[105:106]
	v_mul_f64 v[22:23], v[62:63], s[6:7]
	v_add_f64 v[119:120], v[4:5], v[24:25]
	v_mul_f64 v[24:25], v[54:55], s[20:21]
	v_fma_f64 v[20:21], v[56:57], s[22:23], v[113:114]
	v_mul_f64 v[121:122], v[48:49], s[26:27]
	v_add_f64 v[28:29], v[4:5], v[28:29]
	v_add_f64 v[10:11], v[10:11], v[18:19]
	;; [unrolled: 1-line block ×3, first 2 shown]
	v_fma_f64 v[18:19], v[60:61], s[4:5], v[111:112]
	v_mul_f64 v[26:27], v[58:59], s[10:11]
	v_add_f64 v[83:84], v[6:7], v[83:84]
	v_add_f64 v[30:31], v[4:5], v[30:31]
	v_add_f64 v[32:33], v[4:5], v[32:33]
	v_add_f64 v[12:13], v[6:7], v[12:13]
	v_add_f64 v[34:35], v[4:5], v[34:35]
	v_add_f64 v[16:17], v[20:21], v[16:17]
	v_add_f64 v[10:11], v[18:19], v[10:11]
	v_fma_f64 v[18:19], v[52:53], s[10:11], v[22:23]
	v_fma_f64 v[20:21], v[50:51], s[30:31], v[26:27]
	v_add_f64 v[95:96], v[6:7], v[95:96]
	v_add_f64 v[89:90], v[6:7], v[89:90]
	;; [unrolled: 1-line block ×10, first 2 shown]
	v_fma_f64 v[4:5], v[70:71], s[12:13], -v[91:92]
	v_fma_f64 v[6:7], v[68:69], s[14:15], v[105:106]
	v_add_f64 v[8:9], v[18:19], v[10:11]
	v_add_f64 v[10:11], v[20:21], v[16:17]
	v_fma_f64 v[14:15], v[46:47], s[26:27], v[24:25]
	v_fma_f64 v[16:17], v[44:45], s[36:37], v[121:122]
	v_mul_f64 v[18:19], v[42:43], s[34:35]
	v_mul_f64 v[20:21], v[40:41], s[38:39]
	v_add_f64 v[4:5], v[4:5], v[28:29]
	v_add_f64 v[6:7], v[6:7], v[83:84]
	v_fma_f64 v[28:29], v[60:61], s[4:5], -v[111:112]
	v_fma_f64 v[83:84], v[56:57], s[0:1], v[113:114]
	v_add_f64 v[8:9], v[14:15], v[8:9]
	v_add_f64 v[10:11], v[16:17], v[10:11]
	v_fma_f64 v[14:15], v[38:39], s[38:39], v[18:19]
	v_fma_f64 v[16:17], v[36:37], s[40:41], v[20:21]
	v_mul_f64 v[91:92], v[78:79], s[6:7]
	v_mul_f64 v[105:106], v[76:77], s[10:11]
	v_add_f64 v[28:29], v[28:29], v[4:5]
	v_add_f64 v[83:84], v[83:84], v[6:7]
	;; [unrolled: 10-line block ×19, first 2 shown]
	v_fma_f64 v[89:90], v[38:39], s[12:13], -v[89:90]
	v_fma_f64 v[91:92], v[36:37], s[28:29], v[91:92]
	v_add_f64 v[28:29], v[101:102], v[28:29]
	v_add_f64 v[30:31], v[107:108], v[30:31]
	v_fma_f64 v[99:100], v[52:53], s[38:39], v[109:110]
	v_fma_f64 v[101:102], v[50:51], s[34:35], v[115:116]
	v_fma_f64 v[111:112], v[70:71], s[4:5], -v[111:112]
	v_fma_f64 v[113:114], v[68:69], s[22:23], v[113:114]
	v_fma_f64 v[83:84], v[60:61], s[12:13], -v[83:84]
	v_fma_f64 v[87:88], v[56:57], s[14:15], v[87:88]
	v_mul_f64 v[78:79], v[78:79], s[24:25]
	v_mul_f64 v[76:77], v[76:77], s[16:17]
	v_add_f64 v[99:100], v[99:100], v[28:29]
	v_add_f64 v[101:102], v[101:102], v[30:31]
	;; [unrolled: 1-line block ×6, first 2 shown]
	v_mul_f64 v[105:106], v[54:55], s[24:25]
	v_fma_f64 v[111:112], v[70:71], s[16:17], v[78:79]
	v_fma_f64 v[113:114], v[68:69], s[18:19], v[76:77]
	v_mul_f64 v[74:75], v[74:75], s[20:21]
	v_mul_f64 v[72:73], v[72:73], s[26:27]
	v_fma_f64 v[70:71], v[70:71], s[16:17], -v[78:79]
	v_add_f64 v[83:84], v[83:84], v[89:90]
	v_add_f64 v[87:88], v[87:88], v[91:92]
	v_fma_f64 v[89:90], v[52:53], s[38:39], -v[109:110]
	v_fma_f64 v[91:92], v[50:51], s[40:41], v[115:116]
	v_fma_f64 v[68:69], v[68:69], s[24:25], v[76:77]
	v_fma_f64 v[78:79], v[46:47], s[16:17], -v[105:106]
	v_add_f64 v[85:86], v[111:112], v[85:86]
	v_mul_f64 v[62:63], v[62:63], s[28:29]
	v_add_f64 v[70:71], v[70:71], v[123:124]
	v_mul_f64 v[58:59], v[58:59], s[12:13]
	v_add_f64 v[83:84], v[89:90], v[83:84]
	v_add_f64 v[87:88], v[91:92], v[87:88]
	;; [unrolled: 1-line block ×3, first 2 shown]
	v_fma_f64 v[91:92], v[60:61], s[26:27], v[74:75]
	v_fma_f64 v[103:104], v[56:57], s[36:37], v[72:73]
	v_fma_f64 v[60:61], v[60:61], s[26:27], -v[74:75]
	v_add_f64 v[68:69], v[68:69], v[125:126]
	v_fma_f64 v[56:57], v[56:57], s[20:21], v[72:73]
	v_mul_f64 v[107:108], v[48:49], s[16:17]
	v_fma_f64 v[117:118], v[46:47], s[16:17], v[105:106]
	v_add_f64 v[74:75], v[78:79], v[83:84]
	v_add_f64 v[76:77], v[91:92], v[85:86]
	;; [unrolled: 1-line block ×3, first 2 shown]
	v_fma_f64 v[72:73], v[52:53], s[12:13], v[62:63]
	v_fma_f64 v[83:84], v[50:51], s[14:15], v[58:59]
	v_add_f64 v[60:61], v[60:61], v[70:71]
	v_mul_f64 v[54:55], v[54:55], s[6:7]
	v_fma_f64 v[52:53], v[52:53], s[12:13], -v[62:63]
	v_mul_f64 v[48:49], v[48:49], s[10:11]
	v_add_f64 v[56:57], v[56:57], v[68:69]
	v_fma_f64 v[50:51], v[50:51], s[28:29], v[58:59]
	v_fma_f64 v[121:122], v[44:45], s[18:19], v[107:108]
	v_add_f64 v[93:94], v[117:118], v[99:100]
	v_mul_f64 v[97:98], v[42:43], s[6:7]
	v_mul_f64 v[99:100], v[40:41], s[10:11]
	v_fma_f64 v[62:63], v[44:45], s[24:25], v[107:108]
	v_add_f64 v[58:59], v[72:73], v[76:77]
	v_add_f64 v[68:69], v[83:84], v[78:79]
	v_fma_f64 v[70:71], v[46:47], s[10:11], v[54:55]
	v_add_f64 v[52:53], v[52:53], v[60:61]
	v_fma_f64 v[60:61], v[44:45], s[30:31], v[48:49]
	v_fma_f64 v[46:47], v[46:47], s[10:11], -v[54:55]
	v_add_f64 v[50:51], v[50:51], v[56:57]
	v_fma_f64 v[44:45], v[44:45], s[6:7], v[48:49]
	v_mul_f64 v[42:43], v[42:43], s[22:23]
	v_mul_f64 v[40:41], v[40:41], s[4:5]
	v_add_f64 v[95:96], v[121:122], v[101:102]
	v_fma_f64 v[101:102], v[38:39], s[10:11], v[97:98]
	v_fma_f64 v[109:110], v[36:37], s[30:31], v[99:100]
	v_add_f64 v[54:55], v[62:63], v[87:88]
	v_add_f64 v[48:49], v[70:71], v[58:59]
	;; [unrolled: 1-line block ×4, first 2 shown]
	v_fma_f64 v[52:53], v[38:39], s[10:11], -v[97:98]
	v_fma_f64 v[58:59], v[36:37], s[6:7], v[99:100]
	v_add_f64 v[60:61], v[44:45], v[50:51]
	v_fma_f64 v[44:45], v[38:39], s[4:5], v[42:43]
	v_fma_f64 v[50:51], v[36:37], s[0:1], v[40:41]
	v_fma_f64 v[62:63], v[38:39], s[4:5], -v[42:43]
	v_fma_f64 v[68:69], v[36:37], s[22:23], v[40:41]
	v_add_f64 v[36:37], v[101:102], v[93:94]
	v_add_f64 v[38:39], v[109:110], v[95:96]
	;; [unrolled: 1-line block ×8, first 2 shown]
	s_movk_i32 s0, 0xd0
	v_mad_u32_u24 v52, v64, s0, v81
	v_cmp_gt_u32_e64 s[0:1], 13, v64
	s_waitcnt lgkmcnt(0)
	; wave barrier
	ds_write_b128 v52, v[0:3]
	ds_write_b128 v52, v[4:7] offset:16
	ds_write_b128 v52, v[12:15] offset:32
	;; [unrolled: 1-line block ×12, first 2 shown]
	s_waitcnt lgkmcnt(0)
	; wave barrier
	s_waitcnt lgkmcnt(0)
                                        ; implicit-def: $vgpr54_vgpr55
                                        ; implicit-def: $vgpr62_vgpr63
                                        ; implicit-def: $vgpr58_vgpr59
	s_and_saveexec_b64 s[4:5], s[0:1]
	s_cbranch_execz .LBB0_13
; %bb.12:
	ds_read_b128 v[0:3], v80
	ds_read_b128 v[4:7], v82 offset:208
	ds_read_b128 v[12:15], v82 offset:416
	;; [unrolled: 1-line block ×15, first 2 shown]
.LBB0_13:
	s_or_b64 exec, exec, s[4:5]
	s_waitcnt lgkmcnt(0)
	; wave barrier
	s_waitcnt lgkmcnt(0)
	s_and_saveexec_b64 s[4:5], s[0:1]
	s_cbranch_execz .LBB0_15
; %bb.14:
	v_add_u32_e32 v68, -13, v64
	v_cndmask_b32_e64 v68, v68, v64, s[0:1]
	v_mul_i32_i24_e32 v68, 15, v68
	v_mov_b32_e32 v69, 0
	v_lshlrev_b64 v[68:69], 4, v[68:69]
	v_mov_b32_e32 v70, s9
	v_add_co_u32_e64 v115, s[0:1], s8, v68
	v_addc_co_u32_e64 v116, s[0:1], v70, v69, s[0:1]
	global_load_dwordx4 v[68:71], v[115:116], off offset:16
	global_load_dwordx4 v[72:75], v[115:116], off offset:144
	;; [unrolled: 1-line block ×6, first 2 shown]
	global_load_dwordx4 v[95:98], v[115:116], off
	global_load_dwordx4 v[99:102], v[115:116], off offset:112
	global_load_dwordx4 v[103:106], v[115:116], off offset:176
	;; [unrolled: 1-line block ×4, first 2 shown]
	s_mov_b32 s0, 0x667f3bcd
	s_mov_b32 s1, 0x3fe6a09e
	;; [unrolled: 1-line block ×12, first 2 shown]
	s_waitcnt vmcnt(10)
	v_mul_f64 v[117:118], v[12:13], v[70:71]
	v_mul_f64 v[70:71], v[14:15], v[70:71]
	s_waitcnt vmcnt(9)
	v_mul_f64 v[119:120], v[32:33], v[74:75]
	v_mul_f64 v[74:75], v[34:35], v[74:75]
	v_fma_f64 v[117:118], v[14:15], v[68:69], -v[117:118]
	v_fma_f64 v[121:122], v[12:13], v[68:69], v[70:71]
	global_load_dwordx4 v[12:15], v[115:116], off offset:96
	global_load_dwordx4 v[68:71], v[115:116], off offset:64
	v_fma_f64 v[119:120], v[34:35], v[72:73], -v[119:120]
	v_fma_f64 v[123:124], v[32:33], v[72:73], v[74:75]
	global_load_dwordx4 v[32:35], v[115:116], off offset:224
	global_load_dwordx4 v[72:75], v[115:116], off offset:192
	s_waitcnt vmcnt(12)
	v_mul_f64 v[115:116], v[50:51], v[78:79]
	v_mul_f64 v[78:79], v[48:49], v[78:79]
	v_fma_f64 v[48:49], v[48:49], v[76:77], v[115:116]
	v_fma_f64 v[50:51], v[50:51], v[76:77], -v[78:79]
	s_waitcnt vmcnt(11)
	v_mul_f64 v[76:77], v[62:63], v[85:86]
	v_mul_f64 v[78:79], v[60:61], v[85:86]
	s_waitcnt vmcnt(9)
	v_mul_f64 v[85:86], v[16:17], v[93:94]
	v_mul_f64 v[93:94], v[18:19], v[93:94]
	v_fma_f64 v[60:61], v[60:61], v[83:84], v[76:77]
	v_fma_f64 v[62:63], v[62:63], v[83:84], -v[78:79]
	s_waitcnt vmcnt(5)
	v_mul_f64 v[83:84], v[20:21], v[109:110]
	v_mul_f64 v[109:110], v[22:23], v[109:110]
	v_fma_f64 v[16:17], v[16:17], v[91:92], v[93:94]
	v_mul_f64 v[76:77], v[40:41], v[101:102]
	v_mul_f64 v[78:79], v[26:27], v[89:90]
	v_fma_f64 v[18:19], v[18:19], v[91:92], -v[85:86]
	v_mul_f64 v[85:86], v[10:11], v[105:106]
	v_mul_f64 v[91:92], v[4:5], v[97:98]
	v_fma_f64 v[22:23], v[22:23], v[107:108], -v[83:84]
	v_fma_f64 v[20:21], v[20:21], v[107:108], v[109:110]
	s_waitcnt vmcnt(4)
	v_mul_f64 v[83:84], v[28:29], v[113:114]
	v_add_f64 v[22:23], v[18:19], -v[22:23]
	v_add_f64 v[20:21], v[16:17], -v[20:21]
	v_fma_f64 v[18:19], v[18:19], 2.0, -v[22:23]
	v_fma_f64 v[16:17], v[16:17], 2.0, -v[20:21]
	s_waitcnt vmcnt(3)
	v_mul_f64 v[93:94], v[46:47], v[14:15]
	v_mul_f64 v[14:15], v[44:45], v[14:15]
	s_waitcnt vmcnt(2)
	v_mul_f64 v[107:108], v[38:39], v[70:71]
	s_waitcnt vmcnt(1)
	v_mul_f64 v[109:110], v[58:59], v[34:35]
	v_mul_f64 v[34:35], v[56:57], v[34:35]
	;; [unrolled: 1-line block ×3, first 2 shown]
	v_fma_f64 v[44:45], v[44:45], v[12:13], v[93:94]
	v_fma_f64 v[12:13], v[46:47], v[12:13], -v[14:15]
	s_waitcnt vmcnt(0)
	v_mul_f64 v[14:15], v[54:55], v[74:75]
	v_mul_f64 v[46:47], v[6:7], v[97:98]
	;; [unrolled: 1-line block ×3, first 2 shown]
	v_fma_f64 v[56:57], v[56:57], v[32:33], v[109:110]
	v_fma_f64 v[32:33], v[58:59], v[32:33], -v[34:35]
	v_mul_f64 v[34:35], v[52:53], v[74:75]
	v_mul_f64 v[58:59], v[24:25], v[89:90]
	;; [unrolled: 1-line block ×4, first 2 shown]
	v_fma_f64 v[42:43], v[42:43], v[99:100], -v[76:77]
	v_fma_f64 v[24:25], v[24:25], v[87:88], v[78:79]
	v_fma_f64 v[8:9], v[8:9], v[103:104], v[85:86]
	v_fma_f64 v[6:7], v[6:7], v[95:96], -v[91:92]
	v_fma_f64 v[30:31], v[30:31], v[111:112], -v[83:84]
	v_fma_f64 v[36:37], v[36:37], v[68:69], v[107:108]
	v_fma_f64 v[14:15], v[52:53], v[72:73], v[14:15]
	;; [unrolled: 1-line block ×3, first 2 shown]
	v_fma_f64 v[26:27], v[26:27], v[87:88], -v[58:59]
	v_fma_f64 v[10:11], v[10:11], v[103:104], -v[74:75]
	v_fma_f64 v[40:41], v[40:41], v[99:100], v[89:90]
	v_add_f64 v[46:47], v[117:118], -v[119:120]
	v_add_f64 v[52:53], v[48:49], -v[60:61]
	v_add_f64 v[42:43], v[2:3], -v[42:43]
	v_add_f64 v[8:9], v[24:25], -v[8:9]
	v_add_f64 v[30:31], v[6:7], -v[30:31]
	v_add_f64 v[14:15], v[36:37], -v[14:15]
	v_add_f64 v[56:57], v[44:45], -v[56:57]
	v_fma_f64 v[28:29], v[28:29], v[111:112], v[93:94]
	v_fma_f64 v[38:39], v[38:39], v[68:69], -v[70:71]
	v_fma_f64 v[34:35], v[54:55], v[72:73], -v[34:35]
	v_add_f64 v[54:55], v[121:122], -v[123:124]
	v_add_f64 v[58:59], v[50:51], -v[62:63]
	;; [unrolled: 1-line block ×11, first 2 shown]
	v_add_f64 v[72:73], v[54:55], v[58:59]
	v_add_f64 v[74:75], v[20:21], v[32:33]
	v_fma_f64 v[78:79], v[60:61], s[0:1], v[62:63]
	v_fma_f64 v[87:88], v[2:3], 2.0, -v[42:43]
	v_fma_f64 v[83:84], v[70:71], s[0:1], v[68:69]
	v_add_f64 v[85:86], v[40:41], v[10:11]
	v_fma_f64 v[2:3], v[26:27], 2.0, -v[10:11]
	v_add_f64 v[76:77], v[28:29], v[34:35]
	v_fma_f64 v[26:27], v[121:122], 2.0, -v[54:55]
	v_fma_f64 v[10:11], v[48:49], 2.0, -v[52:53]
	v_fma_f64 v[52:53], v[72:73], s[6:7], v[78:79]
	v_fma_f64 v[4:5], v[4:5], 2.0, -v[28:29]
	v_fma_f64 v[78:79], v[74:75], s[6:7], v[83:84]
	v_fma_f64 v[83:84], v[6:7], 2.0, -v[30:31]
	v_fma_f64 v[6:7], v[38:39], 2.0, -v[34:35]
	;; [unrolled: 1-line block ×3, first 2 shown]
	v_fma_f64 v[38:39], v[72:73], s[0:1], v[85:86]
	v_fma_f64 v[14:15], v[36:37], 2.0, -v[14:15]
	v_add_f64 v[36:37], v[87:88], -v[2:3]
	v_add_f64 v[56:57], v[26:27], -v[10:11]
	v_fma_f64 v[12:13], v[12:13], 2.0, -v[32:33]
	v_fma_f64 v[22:23], v[22:23], 2.0, -v[70:71]
	v_add_f64 v[89:90], v[83:84], -v[6:7]
	v_add_f64 v[10:11], v[16:17], -v[34:35]
	v_fma_f64 v[91:92], v[60:61], s[0:1], v[38:39]
	v_add_f64 v[32:33], v[4:5], -v[14:15]
	v_fma_f64 v[34:35], v[42:43], 2.0, -v[62:63]
	v_fma_f64 v[14:15], v[46:47], 2.0, -v[60:61]
	v_fma_f64 v[60:61], v[30:31], 2.0, -v[68:69]
	v_fma_f64 v[48:49], v[74:75], s[0:1], v[76:77]
	v_add_f64 v[38:39], v[36:37], -v[56:57]
	v_add_f64 v[42:43], v[89:90], -v[10:11]
	;; [unrolled: 1-line block ×3, first 2 shown]
	v_fma_f64 v[30:31], v[117:118], 2.0, -v[46:47]
	v_fma_f64 v[46:47], v[50:51], 2.0, -v[58:59]
	;; [unrolled: 1-line block ×4, first 2 shown]
	v_fma_f64 v[24:25], v[14:15], s[6:7], v[34:35]
	v_fma_f64 v[50:51], v[54:55], 2.0, -v[72:73]
	v_fma_f64 v[54:55], v[22:23], s[6:7], v[60:61]
	v_fma_f64 v[20:21], v[20:21], 2.0, -v[74:75]
	v_fma_f64 v[28:29], v[28:29], 2.0, -v[76:77]
	;; [unrolled: 1-line block ×3, first 2 shown]
	v_fma_f64 v[44:45], v[70:71], s[0:1], v[48:49]
	v_fma_f64 v[58:59], v[42:43], s[0:1], v[38:39]
	v_add_f64 v[46:47], v[30:31], -v[46:47]
	v_add_f64 v[70:71], v[32:33], v[12:13]
	v_add_f64 v[72:73], v[0:1], -v[8:9]
	v_fma_f64 v[24:25], v[50:51], s[6:7], v[24:25]
	v_fma_f64 v[54:55], v[20:21], s[6:7], v[54:55]
	;; [unrolled: 1-line block ×4, first 2 shown]
	v_fma_f64 v[4:5], v[4:5], 2.0, -v[32:33]
	v_fma_f64 v[30:31], v[30:31], 2.0, -v[46:47]
	;; [unrolled: 1-line block ×3, first 2 shown]
	v_fma_f64 v[10:11], v[70:71], s[6:7], v[58:59]
	v_add_f64 v[74:75], v[72:73], v[46:47]
	v_fma_f64 v[46:47], v[54:55], s[14:15], v[24:25]
	v_fma_f64 v[58:59], v[22:23], s[0:1], v[8:9]
	;; [unrolled: 1-line block ×4, first 2 shown]
	v_fma_f64 v[50:51], v[87:88], 2.0, -v[36:37]
	v_fma_f64 v[95:96], v[0:1], 2.0, -v[72:73]
	;; [unrolled: 1-line block ×5, first 2 shown]
	v_add_f64 v[93:94], v[4:5], -v[16:17]
	v_fma_f64 v[12:13], v[70:71], s[0:1], v[74:75]
	v_fma_f64 v[14:15], v[58:59], s[16:17], v[46:47]
	;; [unrolled: 1-line block ×4, first 2 shown]
	v_add_f64 v[87:88], v[50:51], -v[30:31]
	v_add_f64 v[83:84], v[95:96], -v[0:1]
	;; [unrolled: 1-line block ×3, first 2 shown]
	v_fma_f64 v[32:33], v[32:33], 2.0, -v[70:71]
	v_fma_f64 v[8:9], v[42:43], s[0:1], v[12:13]
	v_fma_f64 v[26:27], v[24:25], 2.0, -v[14:15]
	v_fma_f64 v[12:13], v[54:55], s[10:11], v[16:17]
	v_fma_f64 v[24:25], v[34:35], 2.0, -v[24:25]
	v_fma_f64 v[54:55], v[60:61], 2.0, -v[54:55]
	;; [unrolled: 1-line block ×4, first 2 shown]
	v_fma_f64 v[48:49], v[44:45], s[10:11], v[91:92]
	v_fma_f64 v[6:7], v[52:53], 2.0, -v[2:3]
	v_fma_f64 v[52:53], v[62:63], 2.0, -v[52:53]
	;; [unrolled: 1-line block ×12, first 2 shown]
	v_fma_f64 v[40:41], v[54:55], s[16:17], v[24:25]
	v_fma_f64 v[50:51], v[28:29], s[16:17], v[70:71]
	;; [unrolled: 1-line block ×3, first 2 shown]
	v_fma_f64 v[22:23], v[38:39], 2.0, -v[10:11]
	v_fma_f64 v[48:49], v[62:63], s[12:13], v[52:53]
	v_fma_f64 v[38:39], v[36:37], s[6:7], v[68:69]
	;; [unrolled: 1-line block ×4, first 2 shown]
	v_add_f64 v[16:17], v[83:84], v[46:47]
	v_add_f64 v[46:47], v[60:61], -v[44:45]
	v_add_f64 v[44:45], v[56:57], -v[4:5]
	v_fma_f64 v[42:43], v[28:29], s[12:13], v[40:41]
	v_fma_f64 v[40:41], v[54:55], s[14:15], v[50:51]
	;; [unrolled: 1-line block ×6, first 2 shown]
	v_add_f64 v[18:19], v[87:88], -v[93:94]
	v_fma_f64 v[62:63], v[60:61], 2.0, -v[46:47]
	v_fma_f64 v[60:61], v[56:57], 2.0, -v[44:45]
	;; [unrolled: 1-line block ×13, first 2 shown]
	ds_write_b128 v80, v[60:63]
	ds_write_b128 v82, v[56:59] offset:208
	ds_write_b128 v82, v[52:55] offset:416
	;; [unrolled: 1-line block ×15, first 2 shown]
.LBB0_15:
	s_or_b64 exec, exec, s[4:5]
	s_waitcnt lgkmcnt(0)
	; wave barrier
	s_waitcnt lgkmcnt(0)
	ds_read_b128 v[4:7], v80
	v_sub_u32_e32 v12, v81, v65
	v_cmp_ne_u32_e64 s[0:1], 0, v64
                                        ; implicit-def: $vgpr2_vgpr3
                                        ; implicit-def: $vgpr8_vgpr9
                                        ; implicit-def: $vgpr10_vgpr11
	s_and_saveexec_b64 s[4:5], s[0:1]
	s_xor_b64 s[0:1], exec, s[4:5]
	s_cbranch_execz .LBB0_17
; %bb.16:
	global_load_dwordx4 v[0:3], v65, s[8:9] offset:3120
	ds_read_b128 v[8:11], v12 offset:3328
	v_mov_b32_e32 v65, 0
                                        ; implicit-def: $vgpr81
	s_waitcnt lgkmcnt(0)
	v_add_f64 v[13:14], v[4:5], -v[8:9]
	v_add_f64 v[15:16], v[6:7], v[10:11]
	v_add_f64 v[6:7], v[6:7], -v[10:11]
	v_add_f64 v[4:5], v[4:5], v[8:9]
	v_mul_f64 v[10:11], v[13:14], 0.5
	v_mul_f64 v[13:14], v[15:16], 0.5
	;; [unrolled: 1-line block ×3, first 2 shown]
	s_waitcnt vmcnt(0)
	v_mul_f64 v[8:9], v[10:11], v[2:3]
	v_fma_f64 v[15:16], v[13:14], v[2:3], v[6:7]
	v_fma_f64 v[2:3], v[13:14], v[2:3], -v[6:7]
	v_fma_f64 v[17:18], v[4:5], 0.5, v[8:9]
	v_fma_f64 v[4:5], v[4:5], 0.5, -v[8:9]
	v_fma_f64 v[8:9], -v[0:1], v[10:11], v[15:16]
	v_fma_f64 v[2:3], -v[0:1], v[10:11], v[2:3]
	v_mov_b32_e32 v10, v64
	v_mov_b32_e32 v11, v65
	v_fma_f64 v[6:7], v[13:14], v[0:1], v[17:18]
	v_fma_f64 v[0:1], -v[13:14], v[0:1], v[4:5]
                                        ; implicit-def: $vgpr4_vgpr5
	ds_write_b64 v80, v[6:7]
.LBB0_17:
	s_andn2_saveexec_b64 s[0:1], s[0:1]
	s_cbranch_execz .LBB0_19
; %bb.18:
	s_waitcnt lgkmcnt(0)
	v_add_f64 v[2:3], v[4:5], v[6:7]
	ds_read_b64 v[13:14], v81 offset:1672
	v_add_f64 v[0:1], v[4:5], -v[6:7]
	v_mov_b32_e32 v8, 0
	v_mov_b32_e32 v10, 0
	;; [unrolled: 1-line block ×3, first 2 shown]
	s_waitcnt lgkmcnt(0)
	v_xor_b32_e32 v14, 0x80000000, v14
	ds_write_b64 v81, v[13:14] offset:1672
	ds_write_b64 v80, v[2:3]
	v_mov_b32_e32 v2, v8
	v_mov_b32_e32 v11, 0
	;; [unrolled: 1-line block ×3, first 2 shown]
.LBB0_19:
	s_or_b64 exec, exec, s[0:1]
	s_add_u32 s0, s8, 0xc30
	s_waitcnt lgkmcnt(0)
	v_lshlrev_b64 v[4:5], 4, v[10:11]
	s_addc_u32 s1, s9, 0
	v_mov_b32_e32 v7, s1
	v_add_co_u32_e64 v6, s[0:1], s0, v4
	v_addc_co_u32_e64 v7, s[0:1], v7, v5, s[0:1]
	global_load_dwordx4 v[13:16], v[6:7], off offset:256
	global_load_dwordx4 v[17:20], v[6:7], off offset:512
	ds_write_b64 v80, v[8:9] offset:8
	ds_write_b128 v12, v[0:3] offset:3328
	ds_read_b128 v[0:3], v80 offset:256
	ds_read_b128 v[8:11], v12 offset:3072
	s_movk_i32 s0, 0x68
	s_waitcnt lgkmcnt(0)
	v_add_f64 v[21:22], v[0:1], -v[8:9]
	v_add_f64 v[23:24], v[2:3], v[10:11]
	v_add_f64 v[2:3], v[2:3], -v[10:11]
	v_add_f64 v[0:1], v[0:1], v[8:9]
	v_mul_f64 v[21:22], v[21:22], 0.5
	v_mul_f64 v[23:24], v[23:24], 0.5
	v_mul_f64 v[2:3], v[2:3], 0.5
	s_waitcnt vmcnt(1)
	v_mul_f64 v[8:9], v[21:22], v[15:16]
	v_fma_f64 v[10:11], v[23:24], v[15:16], v[2:3]
	v_fma_f64 v[15:16], v[23:24], v[15:16], -v[2:3]
	v_fma_f64 v[25:26], v[0:1], 0.5, v[8:9]
	v_fma_f64 v[27:28], v[0:1], 0.5, -v[8:9]
	global_load_dwordx4 v[0:3], v[6:7], off offset:768
	v_fma_f64 v[10:11], -v[13:14], v[21:22], v[10:11]
	v_fma_f64 v[15:16], -v[13:14], v[21:22], v[15:16]
	v_fma_f64 v[8:9], v[23:24], v[13:14], v[25:26]
	v_fma_f64 v[13:14], -v[23:24], v[13:14], v[27:28]
	ds_write_b128 v80, v[8:11] offset:256
	ds_write_b128 v12, v[13:16] offset:3072
	ds_read_b128 v[8:11], v80 offset:512
	ds_read_b128 v[13:16], v12 offset:2816
	s_waitcnt lgkmcnt(0)
	v_add_f64 v[21:22], v[8:9], -v[13:14]
	v_add_f64 v[23:24], v[10:11], v[15:16]
	v_add_f64 v[10:11], v[10:11], -v[15:16]
	v_add_f64 v[8:9], v[8:9], v[13:14]
	v_mul_f64 v[21:22], v[21:22], 0.5
	v_mul_f64 v[23:24], v[23:24], 0.5
	v_mul_f64 v[10:11], v[10:11], 0.5
	s_waitcnt vmcnt(1)
	v_mul_f64 v[13:14], v[21:22], v[19:20]
	v_fma_f64 v[15:16], v[23:24], v[19:20], v[10:11]
	v_fma_f64 v[19:20], v[23:24], v[19:20], -v[10:11]
	v_fma_f64 v[25:26], v[8:9], 0.5, v[13:14]
	v_fma_f64 v[27:28], v[8:9], 0.5, -v[13:14]
	global_load_dwordx4 v[8:11], v[6:7], off offset:1024
	v_fma_f64 v[15:16], -v[17:18], v[21:22], v[15:16]
	v_fma_f64 v[19:20], -v[17:18], v[21:22], v[19:20]
	v_fma_f64 v[13:14], v[23:24], v[17:18], v[25:26]
	v_fma_f64 v[17:18], -v[23:24], v[17:18], v[27:28]
	ds_write_b128 v80, v[13:16] offset:512
	ds_write_b128 v12, v[17:20] offset:2816
	ds_read_b128 v[13:16], v80 offset:768
	ds_read_b128 v[17:20], v12 offset:2560
	;; [unrolled: 23-line block ×3, first 2 shown]
	s_waitcnt lgkmcnt(0)
	v_add_f64 v[21:22], v[0:1], -v[17:18]
	v_add_f64 v[23:24], v[2:3], v[19:20]
	v_add_f64 v[2:3], v[2:3], -v[19:20]
	v_add_f64 v[0:1], v[0:1], v[17:18]
	v_mul_f64 v[19:20], v[21:22], 0.5
	v_mul_f64 v[21:22], v[23:24], 0.5
	;; [unrolled: 1-line block ×3, first 2 shown]
	s_waitcnt vmcnt(1)
	v_mul_f64 v[17:18], v[19:20], v[10:11]
	v_fma_f64 v[23:24], v[21:22], v[10:11], v[2:3]
	v_fma_f64 v[10:11], v[21:22], v[10:11], -v[2:3]
	v_fma_f64 v[25:26], v[0:1], 0.5, v[17:18]
	v_fma_f64 v[17:18], v[0:1], 0.5, -v[17:18]
	v_fma_f64 v[2:3], -v[8:9], v[19:20], v[23:24]
	v_fma_f64 v[10:11], -v[8:9], v[19:20], v[10:11]
	v_fma_f64 v[0:1], v[21:22], v[8:9], v[25:26]
	v_fma_f64 v[8:9], -v[21:22], v[8:9], v[17:18]
	ds_write_b128 v80, v[0:3] offset:1024
	ds_write_b128 v12, v[8:11] offset:2304
	ds_read_b128 v[0:3], v80 offset:1280
	ds_read_b128 v[8:11], v12 offset:2048
	s_waitcnt lgkmcnt(0)
	v_add_f64 v[17:18], v[0:1], -v[8:9]
	v_add_f64 v[19:20], v[2:3], v[10:11]
	v_add_f64 v[2:3], v[2:3], -v[10:11]
	v_add_f64 v[0:1], v[0:1], v[8:9]
	v_mul_f64 v[10:11], v[17:18], 0.5
	v_mul_f64 v[17:18], v[19:20], 0.5
	;; [unrolled: 1-line block ×3, first 2 shown]
	s_waitcnt vmcnt(0)
	v_mul_f64 v[8:9], v[10:11], v[15:16]
	v_fma_f64 v[19:20], v[17:18], v[15:16], v[2:3]
	v_fma_f64 v[15:16], v[17:18], v[15:16], -v[2:3]
	v_fma_f64 v[21:22], v[0:1], 0.5, v[8:9]
	v_fma_f64 v[8:9], v[0:1], 0.5, -v[8:9]
	v_fma_f64 v[2:3], -v[13:14], v[10:11], v[19:20]
	v_fma_f64 v[10:11], -v[13:14], v[10:11], v[15:16]
	v_fma_f64 v[0:1], v[17:18], v[13:14], v[21:22]
	v_fma_f64 v[8:9], -v[17:18], v[13:14], v[8:9]
	v_or_b32_e32 v13, 0x60, v64
	v_cmp_gt_u32_e64 s[0:1], s0, v13
	ds_write_b128 v80, v[0:3] offset:1280
	ds_write_b128 v12, v[8:11] offset:2048
	s_and_saveexec_b64 s[4:5], s[0:1]
	s_cbranch_execz .LBB0_21
; %bb.20:
	global_load_dwordx4 v[0:3], v[6:7], off offset:1536
	ds_read_b128 v[6:9], v80 offset:1536
	ds_read_b128 v[13:16], v12 offset:1792
	s_waitcnt lgkmcnt(0)
	v_add_f64 v[10:11], v[6:7], -v[13:14]
	v_add_f64 v[17:18], v[8:9], v[15:16]
	v_add_f64 v[8:9], v[8:9], -v[15:16]
	v_add_f64 v[6:7], v[6:7], v[13:14]
	v_mul_f64 v[10:11], v[10:11], 0.5
	v_mul_f64 v[15:16], v[17:18], 0.5
	;; [unrolled: 1-line block ×3, first 2 shown]
	s_waitcnt vmcnt(0)
	v_mul_f64 v[13:14], v[10:11], v[2:3]
	v_fma_f64 v[17:18], v[15:16], v[2:3], v[8:9]
	v_fma_f64 v[2:3], v[15:16], v[2:3], -v[8:9]
	v_fma_f64 v[19:20], v[6:7], 0.5, v[13:14]
	v_fma_f64 v[13:14], v[6:7], 0.5, -v[13:14]
	v_fma_f64 v[8:9], -v[0:1], v[10:11], v[17:18]
	v_fma_f64 v[2:3], -v[0:1], v[10:11], v[2:3]
	v_fma_f64 v[6:7], v[15:16], v[0:1], v[19:20]
	v_fma_f64 v[0:1], -v[15:16], v[0:1], v[13:14]
	ds_write_b128 v80, v[6:9] offset:1536
	ds_write_b128 v12, v[0:3] offset:1792
.LBB0_21:
	s_or_b64 exec, exec, s[4:5]
	s_waitcnt lgkmcnt(0)
	; wave barrier
	s_waitcnt lgkmcnt(0)
	s_and_saveexec_b64 s[0:1], vcc
	s_cbranch_execz .LBB0_24
; %bb.22:
	ds_read_b128 v[6:9], v80
	ds_read_b128 v[10:13], v80 offset:256
	ds_read_b128 v[14:17], v80 offset:512
	v_mov_b32_e32 v1, s3
	v_add_co_u32_e32 v0, vcc, s2, v66
	v_addc_co_u32_e32 v1, vcc, v1, v67, vcc
	v_add_co_u32_e32 v22, vcc, v0, v4
	v_addc_co_u32_e32 v23, vcc, v1, v5, vcc
	s_waitcnt lgkmcnt(2)
	global_store_dwordx4 v[22:23], v[6:9], off
	s_waitcnt lgkmcnt(1)
	global_store_dwordx4 v[22:23], v[10:13], off offset:256
	s_waitcnt lgkmcnt(0)
	global_store_dwordx4 v[22:23], v[14:17], off offset:512
	ds_read_b128 v[2:5], v80 offset:768
	ds_read_b128 v[6:9], v80 offset:1024
	;; [unrolled: 1-line block ×5, first 2 shown]
	s_waitcnt lgkmcnt(4)
	global_store_dwordx4 v[22:23], v[2:5], off offset:768
	s_waitcnt lgkmcnt(3)
	global_store_dwordx4 v[22:23], v[6:9], off offset:1024
	;; [unrolled: 2-line block ×5, first 2 shown]
	ds_read_b128 v[2:5], v80 offset:2048
	ds_read_b128 v[6:9], v80 offset:2304
	;; [unrolled: 1-line block ×5, first 2 shown]
	v_cmp_eq_u32_e32 vcc, 15, v64
	s_waitcnt lgkmcnt(4)
	global_store_dwordx4 v[22:23], v[2:5], off offset:2048
	s_waitcnt lgkmcnt(3)
	global_store_dwordx4 v[22:23], v[6:9], off offset:2304
	;; [unrolled: 2-line block ×5, first 2 shown]
	s_and_b64 exec, exec, vcc
	s_cbranch_execz .LBB0_24
; %bb.23:
	ds_read_b128 v[2:5], v80 offset:3088
	s_waitcnt lgkmcnt(0)
	global_store_dwordx4 v[0:1], v[2:5], off offset:3328
.LBB0_24:
	s_endpgm
	.section	.rodata,"a",@progbits
	.p2align	6, 0x0
	.amdhsa_kernel fft_rtc_back_len208_factors_13_16_wgs_64_tpt_16_halfLds_dp_ip_CI_unitstride_sbrr_R2C_dirReg
		.amdhsa_group_segment_fixed_size 0
		.amdhsa_private_segment_fixed_size 0
		.amdhsa_kernarg_size 88
		.amdhsa_user_sgpr_count 6
		.amdhsa_user_sgpr_private_segment_buffer 1
		.amdhsa_user_sgpr_dispatch_ptr 0
		.amdhsa_user_sgpr_queue_ptr 0
		.amdhsa_user_sgpr_kernarg_segment_ptr 1
		.amdhsa_user_sgpr_dispatch_id 0
		.amdhsa_user_sgpr_flat_scratch_init 0
		.amdhsa_user_sgpr_private_segment_size 0
		.amdhsa_uses_dynamic_stack 0
		.amdhsa_system_sgpr_private_segment_wavefront_offset 0
		.amdhsa_system_sgpr_workgroup_id_x 1
		.amdhsa_system_sgpr_workgroup_id_y 0
		.amdhsa_system_sgpr_workgroup_id_z 0
		.amdhsa_system_sgpr_workgroup_info 0
		.amdhsa_system_vgpr_workitem_id 0
		.amdhsa_next_free_vgpr 127
		.amdhsa_next_free_sgpr 42
		.amdhsa_reserve_vcc 1
		.amdhsa_reserve_flat_scratch 0
		.amdhsa_float_round_mode_32 0
		.amdhsa_float_round_mode_16_64 0
		.amdhsa_float_denorm_mode_32 3
		.amdhsa_float_denorm_mode_16_64 3
		.amdhsa_dx10_clamp 1
		.amdhsa_ieee_mode 1
		.amdhsa_fp16_overflow 0
		.amdhsa_exception_fp_ieee_invalid_op 0
		.amdhsa_exception_fp_denorm_src 0
		.amdhsa_exception_fp_ieee_div_zero 0
		.amdhsa_exception_fp_ieee_overflow 0
		.amdhsa_exception_fp_ieee_underflow 0
		.amdhsa_exception_fp_ieee_inexact 0
		.amdhsa_exception_int_div_zero 0
	.end_amdhsa_kernel
	.text
.Lfunc_end0:
	.size	fft_rtc_back_len208_factors_13_16_wgs_64_tpt_16_halfLds_dp_ip_CI_unitstride_sbrr_R2C_dirReg, .Lfunc_end0-fft_rtc_back_len208_factors_13_16_wgs_64_tpt_16_halfLds_dp_ip_CI_unitstride_sbrr_R2C_dirReg
                                        ; -- End function
	.section	.AMDGPU.csdata,"",@progbits
; Kernel info:
; codeLenInByte = 9276
; NumSgprs: 46
; NumVgprs: 127
; ScratchSize: 0
; MemoryBound: 0
; FloatMode: 240
; IeeeMode: 1
; LDSByteSize: 0 bytes/workgroup (compile time only)
; SGPRBlocks: 5
; VGPRBlocks: 31
; NumSGPRsForWavesPerEU: 46
; NumVGPRsForWavesPerEU: 127
; Occupancy: 2
; WaveLimiterHint : 1
; COMPUTE_PGM_RSRC2:SCRATCH_EN: 0
; COMPUTE_PGM_RSRC2:USER_SGPR: 6
; COMPUTE_PGM_RSRC2:TRAP_HANDLER: 0
; COMPUTE_PGM_RSRC2:TGID_X_EN: 1
; COMPUTE_PGM_RSRC2:TGID_Y_EN: 0
; COMPUTE_PGM_RSRC2:TGID_Z_EN: 0
; COMPUTE_PGM_RSRC2:TIDIG_COMP_CNT: 0
	.type	__hip_cuid_6b4a2f5c3c9811f1,@object ; @__hip_cuid_6b4a2f5c3c9811f1
	.section	.bss,"aw",@nobits
	.globl	__hip_cuid_6b4a2f5c3c9811f1
__hip_cuid_6b4a2f5c3c9811f1:
	.byte	0                               ; 0x0
	.size	__hip_cuid_6b4a2f5c3c9811f1, 1

	.ident	"AMD clang version 19.0.0git (https://github.com/RadeonOpenCompute/llvm-project roc-6.4.0 25133 c7fe45cf4b819c5991fe208aaa96edf142730f1d)"
	.section	".note.GNU-stack","",@progbits
	.addrsig
	.addrsig_sym __hip_cuid_6b4a2f5c3c9811f1
	.amdgpu_metadata
---
amdhsa.kernels:
  - .args:
      - .actual_access:  read_only
        .address_space:  global
        .offset:         0
        .size:           8
        .value_kind:     global_buffer
      - .offset:         8
        .size:           8
        .value_kind:     by_value
      - .actual_access:  read_only
        .address_space:  global
        .offset:         16
        .size:           8
        .value_kind:     global_buffer
      - .actual_access:  read_only
        .address_space:  global
        .offset:         24
        .size:           8
        .value_kind:     global_buffer
      - .offset:         32
        .size:           8
        .value_kind:     by_value
      - .actual_access:  read_only
        .address_space:  global
        .offset:         40
        .size:           8
        .value_kind:     global_buffer
      - .actual_access:  read_only
        .address_space:  global
        .offset:         48
        .size:           8
        .value_kind:     global_buffer
      - .offset:         56
        .size:           4
        .value_kind:     by_value
      - .actual_access:  read_only
        .address_space:  global
        .offset:         64
        .size:           8
        .value_kind:     global_buffer
      - .actual_access:  read_only
        .address_space:  global
        .offset:         72
        .size:           8
        .value_kind:     global_buffer
      - .address_space:  global
        .offset:         80
        .size:           8
        .value_kind:     global_buffer
    .group_segment_fixed_size: 0
    .kernarg_segment_align: 8
    .kernarg_segment_size: 88
    .language:       OpenCL C
    .language_version:
      - 2
      - 0
    .max_flat_workgroup_size: 64
    .name:           fft_rtc_back_len208_factors_13_16_wgs_64_tpt_16_halfLds_dp_ip_CI_unitstride_sbrr_R2C_dirReg
    .private_segment_fixed_size: 0
    .sgpr_count:     46
    .sgpr_spill_count: 0
    .symbol:         fft_rtc_back_len208_factors_13_16_wgs_64_tpt_16_halfLds_dp_ip_CI_unitstride_sbrr_R2C_dirReg.kd
    .uniform_work_group_size: 1
    .uses_dynamic_stack: false
    .vgpr_count:     127
    .vgpr_spill_count: 0
    .wavefront_size: 64
amdhsa.target:   amdgcn-amd-amdhsa--gfx906
amdhsa.version:
  - 1
  - 2
...

	.end_amdgpu_metadata
